;; amdgpu-corpus repo=ROCm/rocFFT kind=compiled arch=gfx950 opt=O3
	.text
	.amdgcn_target "amdgcn-amd-amdhsa--gfx950"
	.amdhsa_code_object_version 6
	.protected	fft_rtc_back_len100_factors_10_10_wgs_250_tpt_10_dim2_sp_ip_CI_sbcc_twdbase8_3step_dirReg_intrinsicReadWrite ; -- Begin function fft_rtc_back_len100_factors_10_10_wgs_250_tpt_10_dim2_sp_ip_CI_sbcc_twdbase8_3step_dirReg_intrinsicReadWrite
	.globl	fft_rtc_back_len100_factors_10_10_wgs_250_tpt_10_dim2_sp_ip_CI_sbcc_twdbase8_3step_dirReg_intrinsicReadWrite
	.p2align	8
	.type	fft_rtc_back_len100_factors_10_10_wgs_250_tpt_10_dim2_sp_ip_CI_sbcc_twdbase8_3step_dirReg_intrinsicReadWrite,@function
fft_rtc_back_len100_factors_10_10_wgs_250_tpt_10_dim2_sp_ip_CI_sbcc_twdbase8_3step_dirReg_intrinsicReadWrite: ; @fft_rtc_back_len100_factors_10_10_wgs_250_tpt_10_dim2_sp_ip_CI_sbcc_twdbase8_3step_dirReg_intrinsicReadWrite
; %bb.0:
	s_load_dwordx4 s[4:7], s[0:1], 0x10
	s_mov_b32 s3, 0
	s_waitcnt lgkmcnt(0)
	s_load_dwordx2 s[10:11], s[4:5], 0x8
	s_load_dwordx2 s[8:9], s[0:1], 0x50
	s_nop 0
	s_load_dwordx2 s[4:5], s[6:7], 0x0
	s_waitcnt lgkmcnt(0)
	s_add_u32 s5, s10, -1
	s_addc_u32 s12, s11, -1
	s_add_u32 s13, 0, 0xd7093700
	s_addc_u32 s14, 0, 51
	s_mul_hi_u32 s16, s13, 0xffffffe7
	s_add_i32 s14, s14, 0xa3d7070
	s_sub_i32 s16, s16, s13
	s_mul_i32 s19, s14, 0xffffffe7
	s_mul_i32 s15, s13, 0xffffffe7
	s_add_i32 s16, s16, s19
	s_mul_hi_u32 s17, s14, s15
	s_mul_i32 s18, s14, s15
	s_mul_i32 s20, s13, s16
	s_mul_hi_u32 s15, s13, s15
	s_mul_hi_u32 s19, s13, s16
	s_add_u32 s15, s15, s20
	s_addc_u32 s19, 0, s19
	s_add_u32 s15, s15, s18
	s_mul_hi_u32 s20, s14, s16
	s_addc_u32 s15, s19, s17
	s_addc_u32 s17, s20, 0
	s_mul_i32 s16, s14, s16
	s_add_u32 s15, s15, s16
	v_mov_b32_e32 v1, s15
	s_addc_u32 s16, 0, s17
	v_add_co_u32_e32 v1, vcc, s13, v1
	s_cmp_lg_u64 vcc, 0
	s_addc_u32 s13, s14, s16
	v_readfirstlane_b32 s16, v1
	s_mul_i32 s15, s5, s13
	s_mul_hi_u32 s17, s5, s16
	s_mul_hi_u32 s14, s5, s13
	s_add_u32 s15, s17, s15
	s_addc_u32 s14, 0, s14
	s_mul_hi_u32 s18, s12, s16
	s_mul_i32 s16, s12, s16
	s_add_u32 s15, s15, s16
	s_mul_hi_u32 s17, s12, s13
	s_addc_u32 s14, s14, s18
	s_addc_u32 s15, s17, 0
	s_mul_i32 s13, s12, s13
	s_add_u32 s13, s14, s13
	s_addc_u32 s14, 0, s15
	s_add_u32 s15, s13, 1
	s_addc_u32 s16, s14, 0
	s_add_u32 s17, s13, 2
	s_mul_i32 s19, s14, 25
	s_mul_hi_u32 s20, s13, 25
	s_addc_u32 s18, s14, 0
	s_add_i32 s20, s20, s19
	s_mul_i32 s19, s13, 25
	v_mov_b32_e32 v1, s19
	v_sub_co_u32_e32 v1, vcc, s5, v1
	s_cmp_lg_u64 vcc, 0
	s_subb_u32 s5, s12, s20
	v_subrev_co_u32_e32 v2, vcc, 25, v1
	s_cmp_lg_u64 vcc, 0
	s_subb_u32 s12, s5, 0
	v_readfirstlane_b32 s19, v2
	s_cmp_gt_u32 s19, 24
	s_cselect_b32 s19, -1, 0
	s_cmp_eq_u32 s12, 0
	s_cselect_b32 s12, s19, -1
	s_cmp_lg_u32 s12, 0
	s_cselect_b32 s12, s17, s15
	s_cselect_b32 s15, s18, s16
	v_readfirstlane_b32 s16, v1
	s_cmp_gt_u32 s16, 24
	s_cselect_b32 s16, -1, 0
	s_cmp_eq_u32 s5, 0
	s_cselect_b32 s5, s16, -1
	s_cmp_lg_u32 s5, 0
	s_cselect_b32 s12, s12, s13
	s_cselect_b32 s5, s15, s14
	s_add_u32 s12, s12, 1
	s_addc_u32 s13, s5, 0
	v_mov_b64_e32 v[2:3], s[12:13]
	v_cmp_lt_u64_e32 vcc, s[2:3], v[2:3]
	s_mov_b64 s[14:15], 0
	s_cbranch_vccnz .LBB0_2
; %bb.1:
	v_cvt_f32_u32_e32 v1, s12
	s_sub_i32 s3, 0, s12
	v_rcp_iflag_f32_e32 v1, v1
	s_nop 0
	v_mul_f32_e32 v1, 0x4f7ffffe, v1
	v_cvt_u32_f32_e32 v1, v1
	s_nop 0
	v_readfirstlane_b32 s5, v1
	s_mul_i32 s3, s3, s5
	s_mul_hi_u32 s3, s5, s3
	s_add_i32 s5, s5, s3
	s_mul_hi_u32 s3, s2, s5
	s_mul_i32 s14, s3, s12
	s_sub_i32 s14, s2, s14
	s_add_i32 s5, s3, 1
	s_sub_i32 s15, s14, s12
	s_cmp_ge_u32 s14, s12
	s_cselect_b32 s3, s5, s3
	s_cselect_b32 s14, s15, s14
	s_add_i32 s5, s3, 1
	s_cmp_ge_u32 s14, s12
	s_cselect_b32 s14, s5, s3
.LBB0_2:
	s_mul_i32 s3, s14, s13
	s_mul_hi_u32 s5, s14, s12
	s_load_dwordx4 s[16:19], s[6:7], 0x8
	s_add_i32 s5, s5, s3
	s_mul_i32 s3, s14, s12
	s_sub_u32 s2, s2, s3
	v_mul_u32_u24_e32 v1, 0xa3e, v0
	s_subb_u32 s3, 0, s5
	v_lshrrev_b32_e32 v52, 16, v1
	s_mul_i32 s6, s3, 25
	s_mul_hi_u32 s3, s2, 25
	s_mul_i32 s12, s2, 25
	v_mul_lo_u16_e32 v1, 25, v52
	s_add_i32 s7, s3, s6
	s_waitcnt lgkmcnt(0)
	s_mul_i32 s3, s12, s16
	s_mul_i32 s5, s18, s14
	v_sub_u16_e32 v6, v0, v1
	v_mov_b32_e32 v7, 0
	s_add_u32 s5, s5, s3
	v_mad_u64_u32 v[20:21], s[2:3], s2, 25, v[6:7]
	s_add_u32 s2, s12, 25
	s_addc_u32 s3, s7, 0
	v_mov_b64_e32 v[2:3], s[10:11]
	v_add_u32_e32 v21, s6, v21
	v_cmp_le_u64_e32 vcc, s[2:3], v[2:3]
	v_mad_u64_u32 v[18:19], s[2:3], s16, v6, 0
	v_cmp_gt_u64_e64 s[2:3], s[10:11], v[20:21]
	s_or_b64 s[2:3], vcc, s[2:3]
	v_mov_b32_e32 v2, 0
	v_mov_b32_e32 v3, 0
	s_and_saveexec_b64 s[6:7], s[2:3]
	s_cbranch_execz .LBB0_4
; %bb.3:
	v_mul_lo_u32 v1, s4, v52
	v_add3_u32 v2, s5, v18, v1
	v_mov_b32_e32 v3, v7
	v_lshl_add_u64 v[2:3], v[2:3], 3, s[8:9]
	global_load_dwordx2 v[2:3], v[2:3], off
.LBB0_4:
	s_or_b64 exec, exec, s[6:7]
	v_mov_b32_e32 v5, 0
	s_and_saveexec_b64 s[6:7], s[2:3]
	s_cbranch_execz .LBB0_6
; %bb.5:
	v_add_u32_e32 v1, 10, v52
	v_mul_lo_u32 v1, s4, v1
	v_add3_u32 v4, s5, v18, v1
	v_mov_b32_e32 v5, 0
	v_lshl_add_u64 v[4:5], v[4:5], 3, s[8:9]
	global_load_dwordx2 v[4:5], v[4:5], off
	s_waitcnt vmcnt(0)
	v_mov_b32_e32 v7, v4
.LBB0_6:
	s_or_b64 exec, exec, s[6:7]
	v_mov_b32_e32 v8, 0
	v_mov_b32_e32 v10, 0
	v_mov_b32_e32 v11, 0
	s_and_saveexec_b64 s[6:7], s[2:3]
	s_cbranch_execz .LBB0_8
; %bb.7:
	v_add_u32_e32 v1, 20, v52
	v_mul_lo_u32 v1, s4, v1
	v_add3_u32 v10, s5, v18, v1
	v_mov_b32_e32 v11, 0
	v_lshl_add_u64 v[10:11], v[10:11], 3, s[8:9]
	global_load_dwordx2 v[10:11], v[10:11], off
.LBB0_8:
	s_or_b64 exec, exec, s[6:7]
	v_mov_b32_e32 v9, 0
	s_and_saveexec_b64 s[6:7], s[2:3]
	s_cbranch_execz .LBB0_10
; %bb.9:
	v_add_u32_e32 v1, 30, v52
	v_mul_lo_u32 v1, s4, v1
	v_add3_u32 v8, s5, v18, v1
	v_mov_b32_e32 v9, 0
	v_lshl_add_u64 v[8:9], v[8:9], 3, s[8:9]
	global_load_dwordx2 v[8:9], v[8:9], off
.LBB0_10:
	s_or_b64 exec, exec, s[6:7]
	v_mov_b32_e32 v12, 0
	v_mov_b32_e32 v14, 0
	v_mov_b32_e32 v15, 0
	s_and_saveexec_b64 s[6:7], s[2:3]
	s_cbranch_execz .LBB0_12
; %bb.11:
	v_add_u32_e32 v1, 40, v52
	v_mul_lo_u32 v1, s4, v1
	v_add3_u32 v14, s5, v18, v1
	v_mov_b32_e32 v15, 0
	v_lshl_add_u64 v[14:15], v[14:15], 3, s[8:9]
	global_load_dwordx2 v[14:15], v[14:15], off
.LBB0_12:
	s_or_b64 exec, exec, s[6:7]
	v_mov_b32_e32 v13, 0
	s_and_saveexec_b64 s[6:7], s[2:3]
	s_cbranch_execz .LBB0_14
; %bb.13:
	v_add_u32_e32 v1, 50, v52
	v_mul_lo_u32 v1, s4, v1
	v_add3_u32 v12, s5, v18, v1
	v_mov_b32_e32 v13, 0
	v_lshl_add_u64 v[12:13], v[12:13], 3, s[8:9]
	global_load_dwordx2 v[12:13], v[12:13], off
.LBB0_14:
	;; [unrolled: 26-line block ×3, first 2 shown]
	s_or_b64 exec, exec, s[6:7]
	v_mov_b32_e32 v24, 0
	v_mov_b32_e32 v26, 0
	;; [unrolled: 1-line block ×3, first 2 shown]
	s_and_saveexec_b64 s[6:7], s[2:3]
	s_cbranch_execz .LBB0_20
; %bb.19:
	v_or_b32_e32 v1, 0x50, v52
	v_mul_lo_u32 v1, s4, v1
	v_add3_u32 v26, s5, v18, v1
	v_mov_b32_e32 v27, 0
	v_lshl_add_u64 v[26:27], v[26:27], 3, s[8:9]
	global_load_dwordx2 v[26:27], v[26:27], off
.LBB0_20:
	s_or_b64 exec, exec, s[6:7]
	v_mov_b32_e32 v25, 0
	s_and_saveexec_b64 s[6:7], s[2:3]
	s_cbranch_execz .LBB0_22
; %bb.21:
	v_add_u32_e32 v1, 0x5a, v52
	v_mul_lo_u32 v1, s4, v1
	v_add3_u32 v24, s5, v18, v1
	v_mov_b32_e32 v25, 0
	v_lshl_add_u64 v[24:25], v[24:25], 3, s[8:9]
	global_load_dwordx2 v[24:25], v[24:25], off
.LBB0_22:
	s_or_b64 exec, exec, s[6:7]
	s_movk_i32 s6, 0x7d0
	v_mad_u32_u24 v53, v52, s6, 0
	s_mov_b32 s6, 0xbe9e377a
	s_waitcnt vmcnt(0)
	v_mov_b32_e32 v34, v8
	v_mov_b32_e32 v35, v24
	;; [unrolled: 1-line block ×4, first 2 shown]
	s_mov_b32 s7, 0x3f737871
	s_mov_b32 s12, 0x3e9e377a
	v_pk_add_f32 v[32:33], v[12:13], v[16:17]
	v_pk_add_f32 v[34:35], v[34:35], v[36:37] neg_lo:[0,1] neg_hi:[0,1]
	v_pk_add_f32 v[38:39], v[14:15], v[22:23]
	v_pk_add_f32 v[40:41], v[10:11], v[26:27] neg_lo:[0,1] neg_hi:[0,1]
	s_mov_b32 s14, s7
	s_mov_b32 s13, 0x3f167918
	v_mov_b32_e32 v4, v7
	v_pk_add_f32 v[28:29], v[2:3], v[10:11]
	v_fmac_f32_e32 v7, -0.5, v32
	v_mov_b32_e32 v32, v35
	v_mov_b32_e32 v1, v5
	v_pk_fma_f32 v[38:39], v[38:39], 0.5, v[2:3] op_sel_hi:[1,0,1] neg_lo:[1,0,0] neg_hi:[1,0,0]
	v_pk_mul_f32 v[42:43], v[40:41], s[14:15] op_sel_hi:[1,0]
	v_pk_add_f32 v[44:45], v[14:15], v[22:23] neg_lo:[0,1] neg_hi:[0,1]
	s_mov_b32 s16, s13
	v_pk_add_f32 v[48:49], v[10:11], v[14:15] neg_lo:[0,1] neg_hi:[0,1]
	v_pk_add_f32 v[50:51], v[26:27], v[22:23] neg_lo:[0,1] neg_hi:[0,1]
	v_pk_add_f32 v[34:35], v[34:35], v[32:33]
	v_fmac_f32_e32 v1, -0.5, v33
	v_mov_b32_e32 v32, v9
	v_mov_b32_e32 v33, v25
	;; [unrolled: 1-line block ×4, first 2 shown]
	v_pk_add_f32 v[28:29], v[28:29], v[14:15]
	v_pk_mul_f32 v[46:47], v[44:45], s[16:17] op_sel_hi:[1,0]
	v_pk_add_f32 v[48:49], v[48:49], v[50:51]
	v_pk_add_f32 v[50:51], v[38:39], v[42:43] op_sel:[0,1] op_sel_hi:[1,0] neg_lo:[0,1] neg_hi:[0,1]
	v_pk_add_f32 v[32:33], v[32:33], v[36:37] neg_lo:[0,1] neg_hi:[0,1]
	v_pk_add_f32 v[28:29], v[28:29], v[22:23]
	v_pk_add_f32 v[38:39], v[38:39], v[42:43] op_sel:[0,1] op_sel_hi:[1,0]
	v_pk_add_f32 v[42:43], v[50:51], v[46:47] op_sel:[0,1] op_sel_hi:[1,0] neg_lo:[0,1] neg_hi:[0,1]
	v_pk_add_f32 v[50:51], v[10:11], v[26:27]
	v_pk_add_f32 v[10:11], v[14:15], v[10:11] neg_lo:[0,1] neg_hi:[0,1]
	v_pk_add_f32 v[14:15], v[22:23], v[26:27] neg_lo:[0,1] neg_hi:[0,1]
	;; [unrolled: 1-line block ×3, first 2 shown]
	v_mov_b32_e32 v36, v33
	v_pk_fma_f32 v[2:3], v[50:51], 0.5, v[2:3] op_sel_hi:[1,0,1] neg_lo:[1,0,0] neg_hi:[1,0,0]
	v_pk_add_f32 v[10:11], v[10:11], v[14:15]
	v_pk_add_f32 v[14:15], v[8:9], v[24:25] neg_lo:[0,1] neg_hi:[0,1]
	v_mov_b32_e32 v35, v23
	v_pk_add_f32 v[50:51], v[8:9], v[24:25]
	v_pk_add_f32 v[30:31], v[4:5], v[8:9]
	;; [unrolled: 1-line block ×4, first 2 shown]
	v_fmamk_f32 v21, v15, 0xbf737871, v7
	v_pk_mul_f32 v[26:27], v[34:35], s[12:13]
	v_fmac_f32_e32 v7, 0x3f737871, v15
	v_pk_fma_f32 v[4:5], v[50:51], 0.5, v[4:5] op_sel_hi:[1,0,1] neg_lo:[1,0,0] neg_hi:[1,0,0]
	v_pk_mul_f32 v[50:51], v[22:23], s[14:15] op_sel_hi:[1,0]
	v_pk_add_f32 v[30:31], v[30:31], v[12:13]
	v_sub_f32_e32 v21, v21, v27
	v_add_f32_e32 v7, v27, v7
	v_pk_add_f32 v[54:55], v[4:5], v[50:51] op_sel:[0,1] op_sel_hi:[1,0] neg_lo:[0,1] neg_hi:[0,1]
	v_pk_mul_f32 v[56:57], v[14:15], s[16:17] op_sel_hi:[1,0]
	v_pk_add_f32 v[8:9], v[12:13], v[8:9] neg_lo:[0,1] neg_hi:[0,1]
	v_pk_add_f32 v[12:13], v[16:17], v[24:25] neg_lo:[0,1] neg_hi:[0,1]
	v_mov_b32_e32 v33, v22
	v_pk_add_f32 v[4:5], v[4:5], v[50:51] op_sel:[0,1] op_sel_hi:[1,0]
	v_pk_add_f32 v[30:31], v[30:31], v[16:17]
	v_add_f32_e32 v34, v26, v21
	v_add_f32_e32 v26, v26, v7
	v_pk_add_f32 v[54:55], v[56:57], v[54:55] op_sel:[1,0] op_sel_hi:[0,1]
	v_pk_add_f32 v[8:9], v[8:9], v[12:13]
	v_fmamk_f32 v7, v14, 0x3f737871, v1
	v_pk_mul_f32 v[16:17], v[32:33], s[12:13]
	v_fmac_f32_e32 v1, 0xbf737871, v14
	v_pk_add_f32 v[4:5], v[4:5], v[56:57] op_sel:[0,1] op_sel_hi:[1,0] neg_lo:[0,1] neg_hi:[0,1]
	v_pk_fma_f32 v[12:13], v[8:9], s[12:13], v[54:55] op_sel_hi:[1,0,1]
	v_add_f32_e32 v7, v17, v7
	v_sub_f32_e32 v1, v1, v17
	v_mov_b32_e32 v54, v4
	v_add_f32_e32 v22, v16, v7
	v_add_f32_e32 v14, v16, v1
	v_pk_fma_f32 v[16:17], v[8:9], s[12:13], v[54:55] op_sel_hi:[1,0,1]
	v_pk_fma_f32 v[4:5], v[8:9], s[12:13], v[4:5] op_sel_hi:[1,0,1]
	v_pk_mul_f32 v[8:9], v[16:17], s[14:15] op_sel_hi:[1,0]
	v_pk_add_f32 v[30:31], v[30:31], v[24:25]
	v_pk_fma_f32 v[24:25], v[16:17], s[12:13], v[8:9] op_sel:[0,0,1] op_sel_hi:[1,0,0] neg_lo:[0,0,1] neg_hi:[0,0,1]
	v_pk_fma_f32 v[8:9], v[16:17], s[12:13], v[8:9] op_sel:[0,0,1] op_sel_hi:[1,0,0]
	v_pk_mul_f32 v[16:17], v[40:41], s[16:17] op_sel_hi:[1,0]
	v_mov_b32_e32 v25, v9
	v_pk_mul_f32 v[8:9], v[44:45], s[14:15] op_sel_hi:[1,0]
	s_mov_b32 s10, 0xbf737871
	v_pk_add_f32 v[32:33], v[2:3], v[8:9] op_sel:[0,1] op_sel_hi:[1,0]
	v_pk_add_f32 v[2:3], v[2:3], v[8:9] op_sel:[0,1] op_sel_hi:[1,0] neg_lo:[0,1] neg_hi:[0,1]
	v_pk_add_f32 v[8:9], v[32:33], v[16:17] op_sel:[0,1] op_sel_hi:[1,0] neg_lo:[0,1] neg_hi:[0,1]
	v_pk_add_f32 v[2:3], v[2:3], v[16:17] op_sel:[0,1] op_sel_hi:[1,0]
	s_mov_b32 s14, 0x3f4f1bbd
	s_mov_b32 s11, s6
	v_mov_b32_e32 v16, v8
	v_mov_b32_e32 v17, v3
	s_mov_b32 s17, s14
	v_pk_mul_f32 v[4:5], v[4:5], s[10:11] op_sel:[1,0]
	v_mov_b32_e32 v3, v9
	v_pk_add_f32 v[38:39], v[38:39], v[46:47] op_sel:[0,1] op_sel_hi:[1,0]
	v_pk_fma_f32 v[16:17], v[10:11], s[12:13], v[16:17] op_sel_hi:[1,0,1]
	s_mov_b32 s15, s13
	v_pk_mul_f32 v[22:23], v[22:23], s[16:17] op_sel_hi:[0,1]
	v_pk_fma_f32 v[4:5], v[12:13], s[6:7], v[4:5] op_sel_hi:[0,1,1]
	v_pk_fma_f32 v[2:3], v[10:11], s[12:13], v[2:3] op_sel_hi:[1,0,1]
	v_lshl_add_u32 v19, v6, 3, v53
	v_mov_b32_e32 v47, v39
	v_pk_fma_f32 v[32:33], v[34:35], s[14:15], v[22:23] neg_lo:[0,0,1] neg_hi:[0,0,1]
	v_pk_fma_f32 v[22:23], v[34:35], s[14:15], v[22:23] op_sel_hi:[0,1,1]
	v_pk_add_f32 v[34:35], v[16:17], v[24:25]
	v_pk_add_f32 v[8:9], v[2:3], v[4:5]
	v_mov_b32_e32 v39, v43
	s_mov_b32 s14, 0xbf4f1bbd
	v_pk_mul_f32 v[10:11], v[14:15], s[16:17] op_sel_hi:[0,1]
	v_mov_b32_e32 v46, v42
	ds_write2_b64 v19, v[34:35], v[8:9] offset0:50 offset1:75
	v_pk_fma_f32 v[8:9], v[48:49], s[12:13], v[38:39] op_sel_hi:[1,0,1]
	v_pk_fma_f32 v[10:11], v[26:27], s[14:15], v[10:11] op_sel_hi:[0,1,1] neg_lo:[0,0,1] neg_hi:[0,0,1]
	v_pk_fma_f32 v[46:47], v[48:49], s[12:13], v[46:47] op_sel_hi:[1,0,1]
	v_mov_b32_e32 v33, v23
	v_pk_add_f32 v[12:13], v[8:9], v[10:11]
	v_pk_add_f32 v[14:15], v[28:29], v[30:31] neg_lo:[0,1] neg_hi:[0,1]
	v_pk_add_f32 v[36:37], v[28:29], v[30:31]
	v_pk_add_f32 v[22:23], v[46:47], v[32:33]
	ds_write2_b64 v19, v[12:13], v[14:15] offset0:100 offset1:125
	v_pk_add_f32 v[12:13], v[46:47], v[32:33] neg_lo:[0,1] neg_hi:[0,1]
	v_pk_add_f32 v[14:15], v[16:17], v[24:25] neg_lo:[0,1] neg_hi:[0,1]
	;; [unrolled: 1-line block ×4, first 2 shown]
	ds_write2_b64 v19, v[36:37], v[22:23] offset1:25
	ds_write2_b64 v19, v[12:13], v[14:15] offset0:150 offset1:175
	ds_write2_b64 v19, v[2:3], v[4:5] offset0:200 offset1:225
	s_waitcnt lgkmcnt(0)
	s_barrier
	s_and_saveexec_b64 s[16:17], s[2:3]
	s_cbranch_execz .LBB0_24
; %bb.23:
	v_mul_lo_u16_e32 v1, 26, v52
	v_mov_b32_e32 v2, 10
	v_mul_lo_u16_sdwa v1, v1, v2 dst_sel:DWORD dst_unused:UNUSED_PAD src0_sel:BYTE_1 src1_sel:DWORD
	s_load_dwordx4 s[0:3], s[0:1], 0x0
	v_sub_u16_e32 v1, v52, v1
	v_and_b32_e32 v1, 0xff, v1
	v_add_u32_e32 v2, 0x46, v1
	v_mov_b32_e32 v19, 3
	v_mul_lo_u32 v66, v20, v2
	v_lshlrev_b32_sdwa v2, v19, v66 dst_sel:DWORD dst_unused:UNUSED_PAD src0_sel:DWORD src1_sel:BYTE_0
	s_waitcnt lgkmcnt(0)
	global_load_dwordx2 v[22:23], v2, s[2:3]
	v_lshlrev_b32_sdwa v2, v19, v66 dst_sel:DWORD dst_unused:UNUSED_PAD src0_sel:DWORD src1_sel:BYTE_1
	global_load_dwordx2 v[24:25], v2, s[2:3] offset:2048
	v_add_u32_e32 v2, 40, v1
	v_mul_lo_u32 v21, v20, v2
	v_lshlrev_b32_sdwa v2, v19, v21 dst_sel:DWORD dst_unused:UNUSED_PAD src0_sel:DWORD src1_sel:BYTE_0
	v_lshlrev_b32_sdwa v3, v19, v21 dst_sel:DWORD dst_unused:UNUSED_PAD src0_sel:DWORD src1_sel:BYTE_1
	global_load_dwordx2 v[48:49], v2, s[2:3]
	global_load_dwordx2 v[50:51], v3, s[2:3] offset:2048
	v_add_u32_e32 v2, 60, v1
	v_mul_lo_u32 v10, v20, v2
	v_lshlrev_b32_sdwa v2, v19, v10 dst_sel:DWORD dst_unused:UNUSED_PAD src0_sel:DWORD src1_sel:BYTE_0
	v_lshlrev_b32_sdwa v3, v19, v10 dst_sel:DWORD dst_unused:UNUSED_PAD src0_sel:DWORD src1_sel:BYTE_1
	global_load_dwordx2 v[30:31], v2, s[2:3]
	global_load_dwordx2 v[32:33], v3, s[2:3] offset:2048
	v_add_u32_e32 v2, 30, v1
	v_mul_lo_u32 v11, v20, v2
	v_lshlrev_b32_sdwa v2, v19, v11 dst_sel:DWORD dst_unused:UNUSED_PAD src0_sel:DWORD src1_sel:BYTE_0
	global_load_dwordx2 v[34:35], v2, s[2:3]
	v_lshlrev_b32_sdwa v2, v19, v11 dst_sel:DWORD dst_unused:UNUSED_PAD src0_sel:DWORD src1_sel:BYTE_1
	global_load_dwordx2 v[36:37], v2, s[2:3] offset:2048
	v_add_u32_e32 v2, 20, v1
	v_mul_lo_u32 v12, v20, v2
	v_lshlrev_b32_sdwa v2, v19, v12 dst_sel:DWORD dst_unused:UNUSED_PAD src0_sel:DWORD src1_sel:BYTE_0
	v_lshlrev_b32_sdwa v3, v19, v12 dst_sel:DWORD dst_unused:UNUSED_PAD src0_sel:DWORD src1_sel:BYTE_1
	global_load_dwordx2 v[38:39], v2, s[2:3]
	global_load_dwordx2 v[40:41], v3, s[2:3] offset:2048
	v_add_u32_e32 v2, 10, v1
	v_mul_lo_u32 v68, v20, v2
	v_lshlrev_b32_sdwa v2, v19, v68 dst_sel:DWORD dst_unused:UNUSED_PAD src0_sel:DWORD src1_sel:BYTE_0
	v_mul_lo_u32 v13, v20, v1
	v_lshlrev_b32_sdwa v3, v19, v68 dst_sel:DWORD dst_unused:UNUSED_PAD src0_sel:DWORD src1_sel:BYTE_1
	global_load_dwordx2 v[26:27], v2, s[2:3]
	global_load_dwordx2 v[28:29], v3, s[2:3] offset:2048
	v_lshlrev_b32_sdwa v2, v19, v13 dst_sel:DWORD dst_unused:UNUSED_PAD src0_sel:DWORD src1_sel:BYTE_0
	v_lshlrev_b32_sdwa v3, v19, v13 dst_sel:DWORD dst_unused:UNUSED_PAD src0_sel:DWORD src1_sel:BYTE_1
	global_load_dwordx2 v[42:43], v2, s[2:3]
	global_load_dwordx2 v[44:45], v3, s[2:3] offset:2048
	v_mul_u32_u24_e32 v2, 9, v1
	v_lshlrev_b32_e32 v54, 3, v2
	global_load_dwordx4 v[2:5], v54, s[0:1] offset:48
	global_load_dwordx2 v[46:47], v54, s[0:1] offset:64
	v_lshlrev_b32_e32 v14, 3, v6
	global_load_dwordx4 v[6:9], v54, s[0:1] offset:32
	v_mul_i32_i24_e32 v15, 0xfffff8f8, v52
	v_add3_u32 v69, v53, v15, v14
	v_add_u32_e32 v14, 0x5a, v1
	v_or_b32_e32 v15, 0x50, v1
	v_mul_lo_u32 v52, v20, v14
	v_mul_lo_u32 v82, v20, v15
	global_load_dwordx4 v[14:17], v54, s[0:1] offset:16
	v_mov_b32_e32 v67, 0x1000
	v_bfe_u32 v13, v13, 16, 8
	v_bfe_u32 v53, v10, 16, 8
	;; [unrolled: 1-line block ×4, first 2 shown]
	v_lshl_or_b32 v71, v13, 3, v67
	global_load_dwordx4 v[10:13], v54, s[0:1]
	v_lshlrev_b32_sdwa v57, v19, v52 dst_sel:DWORD dst_unused:UNUSED_PAD src0_sel:DWORD src1_sel:BYTE_0
	v_lshlrev_b32_sdwa v58, v19, v52 dst_sel:DWORD dst_unused:UNUSED_PAD src0_sel:DWORD src1_sel:BYTE_1
	global_load_dwordx2 v[60:61], v57, s[2:3]
	global_load_dwordx2 v[62:63], v58, s[2:3] offset:2048
	v_bfe_u32 v54, v82, 16, 8
	v_bfe_u32 v52, v52, 16, 8
	v_lshl_or_b32 v75, v54, 3, v67
	v_lshl_or_b32 v72, v53, 3, v67
	;; [unrolled: 1-line block ×5, first 2 shown]
	global_load_dwordx2 v[52:53], v75, s[2:3]
	global_load_dwordx2 v[64:65], v76, s[2:3]
	;; [unrolled: 1-line block ×5, first 2 shown]
	v_add_u32_e32 v70, 0x1f40, v69
	s_mov_b32 s0, 0xbf167918
	s_mov_b32 s1, s14
	s_waitcnt vmcnt(24)
	v_mul_f32_e32 v85, v22, v25
	v_fmac_f32_e32 v85, v23, v24
	s_waitcnt vmcnt(22)
	v_mul_f32_e32 v72, v49, v51
	v_mul_f32_e32 v83, v48, v51
	v_fma_f32 v84, v48, v50, -v72
	v_fmac_f32_e32 v83, v49, v50
	v_bfe_u32 v50, v66, 16, 8
	v_mul_f32_e32 v66, v23, v25
	v_fma_f32 v86, v22, v24, -v66
	s_waitcnt vmcnt(20)
	v_mul_f32_e32 v22, v31, v33
	v_fma_f32 v89, v30, v32, -v22
	v_lshl_or_b32 v50, v50, 3, v67
	v_mul_f32_e32 v87, v30, v33
	global_load_dwordx2 v[48:49], v71, s[2:3]
	v_fmac_f32_e32 v87, v31, v32
	global_load_dwordx2 v[50:51], v50, s[2:3]
	s_waitcnt vmcnt(20)
	v_mul_f32_e32 v23, v35, v37
	v_fma_f32 v91, v34, v36, -v23
	s_waitcnt vmcnt(18)
	v_mul_f32_e32 v22, v39, v41
	v_fma_f32 v92, v38, v40, -v22
	v_bfe_u32 v22, v68, 16, 8
	v_lshl_or_b32 v22, v22, 3, v67
	global_load_dwordx2 v[30:31], v22, s[2:3]
	v_mul_f32_e32 v90, v38, v41
	s_waitcnt vmcnt(17)
	v_mul_f32_e32 v22, v27, v29
	v_fma_f32 v93, v26, v28, -v22
	v_mul_f32_e32 v94, v26, v29
	s_waitcnt vmcnt(15)
	v_mul_f32_e32 v22, v43, v45
	v_fma_f32 v95, v42, v44, -v22
	v_add_u32_e32 v22, 0x3e80, v69
	ds_read2_b64 v[22:25], v22 offset1:250
	v_add_u32_e32 v26, 0x2ec0, v69
	v_fmac_f32_e32 v94, v27, v28
	ds_read2_b64 v[26:29], v26 offset0:4 offset1:254
	s_waitcnt vmcnt(14)
	v_mov_b32_e32 v32, v5
	s_waitcnt lgkmcnt(1)
	v_pk_mul_f32 v[32:33], v[22:23], v[32:33] op_sel_hi:[1,0]
	v_fmac_f32_e32 v90, v39, v40
	v_mul_f32_e32 v96, v42, v45
	v_pk_fma_f32 v[38:39], v[22:23], v[4:5], v[32:33] op_sel:[0,0,1] op_sel_hi:[1,1,0]
	v_pk_fma_f32 v[32:33], v[22:23], v[4:5], v[32:33] op_sel:[0,0,1] op_sel_hi:[1,0,0] neg_lo:[0,0,1] neg_hi:[0,0,1]
	s_waitcnt lgkmcnt(0)
	v_pk_mul_f32 v[4:5], v[28:29], v[2:3] op_sel:[0,1]
	v_fmac_f32_e32 v96, v44, v43
	v_pk_fma_f32 v[40:41], v[28:29], v[2:3], v[4:5] op_sel:[0,0,1] op_sel_hi:[1,1,0]
	v_pk_fma_f32 v[42:43], v[28:29], v[2:3], v[4:5] op_sel:[0,0,1] op_sel_hi:[1,0,0] neg_lo:[0,0,1] neg_hi:[0,0,1]
	ds_read2_b64 v[2:5], v70 offset1:250
	s_waitcnt vmcnt(12)
	v_mov_b32_e32 v22, v9
	v_pk_mul_f32 v[22:23], v[26:27], v[22:23] op_sel_hi:[1,0]
	v_mul_f32_e32 v88, v34, v37
	v_pk_fma_f32 v[44:45], v[26:27], v[8:9], v[22:23] op_sel:[0,0,1] op_sel_hi:[1,1,0]
	v_pk_fma_f32 v[8:9], v[26:27], v[8:9], v[22:23] op_sel:[0,0,1] op_sel_hi:[1,0,0] neg_lo:[0,0,1] neg_hi:[0,0,1]
	v_fmac_f32_e32 v88, v35, v36
	v_pk_mul_f32 v[34:35], v[24:25], v[46:47] op_sel:[0,1]
	v_add_u32_e32 v8, 0xf80, v69
	v_pk_fma_f32 v[36:37], v[24:25], v[46:47], v[34:35] op_sel:[0,0,1] op_sel_hi:[1,1,0]
	v_pk_fma_f32 v[34:35], v[24:25], v[46:47], v[34:35] op_sel:[0,0,1] op_sel_hi:[1,0,0] neg_lo:[0,0,1] neg_hi:[0,0,1]
	ds_read2_b64 v[22:25], v8 offset0:4 offset1:254
	s_waitcnt lgkmcnt(1)
	v_pk_mul_f32 v[26:27], v[6:7], v[4:5] op_sel:[0,1]
	v_mov_b32_e32 v39, v33
	v_pk_fma_f32 v[46:47], v[6:7], v[4:5], v[26:27] op_sel:[0,0,1] op_sel_hi:[1,1,0]
	v_pk_fma_f32 v[4:5], v[6:7], v[4:5], v[26:27] op_sel:[0,0,1] op_sel_hi:[1,0,0] neg_lo:[1,0,0] neg_hi:[1,0,0]
	ds_read2_b64 v[26:29], v69 offset1:250
	s_waitcnt vmcnt(11)
	v_pk_mul_f32 v[6:7], v[16:17], v[2:3] op_sel:[0,1]
	v_mov_b32_e32 v45, v9
	v_pk_fma_f32 v[70:71], v[16:17], v[2:3], v[6:7] op_sel:[0,0,1] op_sel_hi:[1,1,0]
	v_pk_fma_f32 v[2:3], v[16:17], v[2:3], v[6:7] op_sel:[0,0,1] op_sel_hi:[1,0,0] neg_lo:[1,0,0] neg_hi:[1,0,0]
	s_waitcnt lgkmcnt(1)
	v_pk_mul_f32 v[6:7], v[14:15], v[24:25] op_sel:[0,1]
	s_waitcnt vmcnt(8)
	v_mul_f32_e32 v2, v60, v62
	v_pk_fma_f32 v[16:17], v[14:15], v[24:25], v[6:7] op_sel:[0,0,1] op_sel_hi:[1,1,0]
	v_pk_fma_f32 v[14:15], v[14:15], v[24:25], v[6:7] op_sel:[0,0,1] op_sel_hi:[1,0,0] neg_lo:[1,0,0] neg_hi:[1,0,0]
	v_pk_mul_f32 v[6:7], v[12:13], v[22:23] op_sel:[0,1]
	v_mov_b32_e32 v71, v3
	v_pk_fma_f32 v[24:25], v[12:13], v[22:23], v[6:7] op_sel:[0,0,1] op_sel_hi:[1,1,0]
	v_pk_fma_f32 v[12:13], v[12:13], v[22:23], v[6:7] op_sel:[0,0,1] op_sel_hi:[1,0,0] neg_lo:[1,0,0] neg_hi:[1,0,0]
	s_waitcnt lgkmcnt(0)
	v_pk_mul_f32 v[6:7], v[10:11], v[28:29] op_sel:[0,1]
	v_mov_b32_e32 v25, v13
	v_pk_fma_f32 v[22:23], v[10:11], v[28:29], v[6:7] op_sel:[0,0,1] op_sel_hi:[1,0,0]
	v_pk_fma_f32 v[6:7], v[10:11], v[28:29], v[6:7] op_sel:[0,0,1] op_sel_hi:[1,0,0] neg_lo:[1,0,0] neg_hi:[1,0,0]
	v_pk_mul_f32 v[10:11], v[60:61], v[62:63] op_sel:[1,0] op_sel_hi:[0,1]
	v_fma_f32 v4, -v61, v63, v2
	v_add_f32_e32 v6, v10, v11
	v_pk_add_f32 v[8:9], v[24:25], v[70:71] neg_lo:[0,1] neg_hi:[0,1]
	v_pk_add_f32 v[10:11], v[38:39], v[44:45] neg_lo:[0,1] neg_hi:[0,1]
	s_waitcnt vmcnt(6)
	v_mul_f32_e32 v2, v4, v65
	v_pk_add_f32 v[8:9], v[8:9], v[10:11]
	v_mov_b32_e32 v10, v16
	v_mov_b32_e32 v11, v36
	;; [unrolled: 1-line block ×4, first 2 shown]
	v_fmac_f32_e32 v2, v64, v6
	v_mul_f32_e32 v6, v6, v65
	v_pk_add_f32 v[28:29], v[10:11], v[12:13] neg_lo:[0,1] neg_hi:[0,1]
	v_mov_b32_e32 v34, v15
	v_mov_b32_e32 v42, v5
	v_fma_f32 v4, v64, v4, -v6
	v_mov_b32_e32 v6, v29
	v_mov_b32_e32 v17, v15
	;; [unrolled: 1-line block ×3, first 2 shown]
	v_pk_add_f32 v[14:15], v[34:35], v[42:43] neg_lo:[0,1] neg_hi:[0,1]
	v_mov_b32_e32 v41, v43
	v_pk_add_f32 v[28:29], v[28:29], v[6:7]
	v_mov_b32_e32 v6, v15
	v_pk_add_f32 v[32:33], v[46:47], v[40:41]
	v_pk_add_f32 v[14:15], v[14:15], v[6:7]
	v_fma_f32 v97, -0.5, v32, v22
	v_fma_f32 v98, -0.5, v33, v7
	v_mov_b32_e32 v37, v35
	v_pk_add_f32 v[32:33], v[46:47], v[40:41] neg_lo:[0,1] neg_hi:[0,1]
	v_pk_add_f32 v[60:61], v[16:17], v[36:37] neg_lo:[0,1] neg_hi:[0,1]
	v_mov_b32_e32 v15, v32
	v_mov_b32_e32 v29, v33
	v_pk_mul_f32 v[14:15], v[14:15], s[12:13]
	v_fmamk_f32 v5, v60, 0xbf737871, v98
	v_pk_mul_f32 v[28:29], v[28:29], s[12:13]
	v_fmamk_f32 v3, v61, 0x3f737871, v97
	v_sub_f32_e32 v5, v5, v15
	v_add_f32_e32 v3, v29, v3
	v_add_f32_e32 v6, v14, v5
	v_pk_mul_f32 v[62:63], v[6:7], s[0:1] op_sel_hi:[0,1]
	v_add_f32_e32 v6, v28, v3
	v_pk_add_f32 v[64:65], v[70:71], v[44:45]
	v_pk_fma_f32 v[62:63], v[6:7], s[14:15], v[62:63] op_sel_hi:[0,1,1]
	v_pk_fma_f32 v[64:65], v[64:65], 0.5, v[26:27] op_sel_hi:[1,0,1] neg_lo:[1,0,0] neg_hi:[1,0,0]
	s_mov_b32 s14, s7
	v_pk_add_f32 v[68:69], v[24:25], v[38:39] neg_lo:[0,1] neg_hi:[0,1]
	s_mov_b32 s0, s13
	v_pk_fma_f32 v[72:73], v[68:69], s[14:15], v[64:65] op_sel:[1,0,0] op_sel_hi:[0,0,1]
	v_pk_fma_f32 v[64:65], v[68:69], s[14:15], v[64:65] op_sel:[1,0,0] op_sel_hi:[0,0,1] neg_lo:[1,0,0] neg_hi:[1,0,0]
	v_pk_add_f32 v[74:75], v[70:71], v[44:45] neg_lo:[0,1] neg_hi:[0,1]
	v_pk_add_f32 v[10:11], v[12:13], v[10:11] neg_lo:[0,1] neg_hi:[0,1]
	v_pk_fma_f32 v[64:65], v[74:75], s[0:1], v[64:65] op_sel:[1,0,0] op_sel_hi:[0,0,1] neg_lo:[1,0,0] neg_hi:[1,0,0]
	v_pk_fma_f32 v[76:77], v[74:75], s[0:1], v[72:73] op_sel:[1,0,0] op_sel_hi:[0,0,1]
	v_mov_b32_e32 v77, v65
	v_pk_fma_f32 v[76:77], v[8:9], s[12:13], v[76:77] op_sel_hi:[1,0,1]
	v_pk_mul_f32 v[8:9], v[8:9], s[12:13] op_sel_hi:[1,0]
	v_pk_add_f32 v[78:79], v[76:77], v[62:63] neg_lo:[0,1] neg_hi:[0,1]
	v_fmac_f32_e32 v73, 0x3f167918, v74
	v_pk_mul_f32 v[80:81], v[78:79], v[2:3] op_sel_hi:[1,0]
	v_add_f32_e32 v64, v8, v64
	v_pk_fma_f32 v[2:3], v[78:79], v[4:5], v[80:81] op_sel:[0,0,1] op_sel_hi:[1,1,0]
	v_pk_fma_f32 v[4:5], v[78:79], v[4:5], v[80:81] op_sel:[0,0,1] op_sel_hi:[1,0,0] neg_lo:[0,0,1] neg_hi:[0,0,1]
	v_add_u32_e32 v3, 50, v1
	v_mul_lo_u32 v3, v20, v3
	v_bfe_u32 v4, v21, 16, 8
	v_bfe_u32 v6, v3, 16, 8
	v_lshlrev_b32_sdwa v23, v19, v3 dst_sel:DWORD dst_unused:UNUSED_PAD src0_sel:DWORD src1_sel:BYTE_0
	v_lshl_or_b32 v4, v4, 3, v67
	v_lshl_or_b32 v6, v6, 3, v67
	v_lshlrev_b32_sdwa v3, v19, v3 dst_sel:DWORD dst_unused:UNUSED_PAD src0_sel:DWORD src1_sel:BYTE_1
	global_load_dwordx2 v[20:21], v23, s[2:3]
	global_load_dwordx2 v[66:67], v3, s[2:3] offset:2048
	global_load_dwordx2 v[78:79], v4, s[2:3]
	global_load_dwordx2 v[80:81], v6, s[2:3]
	v_mov_b32_e32 v23, v7
	v_mov_b32_e32 v12, v11
	v_pk_add_f32 v[10:11], v[10:11], v[12:13]
	v_pk_add_f32 v[12:13], v[16:17], v[36:37]
	v_fmac_f32_e32 v98, 0x3f737871, v60
	v_fmac_f32_e32 v97, 0xbf737871, v61
	v_sub_f32_e32 v11, v97, v29
	s_waitcnt vmcnt(2)
	v_mul_f32_e32 v3, v20, v66
	v_fma_f32 v3, -v21, v67, v3
	v_pk_mul_f32 v[20:21], v[20:21], v[66:67] op_sel:[1,0] op_sel_hi:[0,1]
	v_add_f32_e32 v6, v20, v21
	v_pk_add_f32 v[20:21], v[22:23], v[16:17]
	s_waitcnt vmcnt(0)
	v_mul_f32_e32 v4, v3, v81
	v_pk_add_f32 v[20:21], v[20:21], v[46:47]
	v_fmac_f32_e32 v4, v80, v6
	v_pk_add_f32 v[20:21], v[20:21], v[40:41]
	v_pk_add_f32 v[40:41], v[24:25], v[38:39]
	;; [unrolled: 1-line block ×3, first 2 shown]
	v_pk_fma_f32 v[40:41], v[40:41], 0.5, v[26:27] op_sel_hi:[1,0,1] neg_lo:[1,0,0] neg_hi:[1,0,0]
	v_pk_add_f32 v[26:27], v[26:27], v[24:25]
	v_mul_f32_e32 v6, v6, v81
	v_pk_add_f32 v[26:27], v[26:27], v[70:71]
	v_fma_f32 v6, v80, v3, -v6
	v_pk_add_f32 v[26:27], v[26:27], v[44:45]
	v_mul_f32_e32 v72, v84, v79
	v_pk_add_f32 v[26:27], v[26:27], v[38:39]
	v_lshlrev_b32_sdwa v3, v19, v82 dst_sel:DWORD dst_unused:UNUSED_PAD src0_sel:DWORD src1_sel:BYTE_1
	v_pk_add_f32 v[46:47], v[26:27], v[20:21] neg_lo:[0,1] neg_hi:[0,1]
	v_fmac_f32_e32 v72, v78, v83
	v_pk_mul_f32 v[66:67], v[46:47], v[4:5] op_sel_hi:[1,0]
	v_mul_f32_e32 v4, v87, v59
	v_fma_f32 v65, v58, v89, -v4
	v_mul_f32_e32 v59, v89, v59
	v_mul_f32_e32 v4, v83, v79
	v_fmac_f32_e32 v59, v58, v87
	v_fma_f32 v58, v78, v84, -v4
	v_mul_f32_e32 v4, v88, v57
	v_pk_fma_f32 v[80:81], v[46:47], v[6:7], v[66:67] op_sel:[0,0,1] op_sel_hi:[1,1,0]
	v_pk_fma_f32 v[46:47], v[46:47], v[6:7], v[66:67] op_sel:[0,0,1] op_sel_hi:[1,0,0] neg_lo:[0,0,1] neg_hi:[0,0,1]
	v_fma_f32 v78, v56, v91, -v4
	v_mul_f32_e32 v57, v91, v57
	v_mul_f32_e32 v4, v90, v55
	global_load_dwordx2 v[66:67], v3, s[2:3] offset:2048
	v_mul_f32_e32 v3, v85, v51
	v_mul_f32_e32 v46, v86, v51
	v_fmac_f32_e32 v57, v56, v88
	v_fma_f32 v56, v54, v92, -v4
	v_lshlrev_b32_sdwa v4, v19, v82 dst_sel:DWORD dst_unused:UNUSED_PAD src0_sel:DWORD src1_sel:BYTE_0
	v_fma_f32 v3, v50, v86, -v3
	v_fmac_f32_e32 v46, v50, v85
	global_load_dwordx2 v[50:51], v4, s[2:3]
	v_mul_f32_e32 v55, v92, v55
	v_mul_f32_e32 v4, v94, v31
	v_fmac_f32_e32 v55, v54, v90
	v_fma_f32 v54, v30, v93, -v4
	v_mul_f32_e32 v4, v49, v96
	v_fma_f32 v81, v48, v95, -v4
	v_mul_f32_e32 v49, v49, v95
	v_fmac_f32_e32 v49, v48, v96
	v_add_f32_e32 v48, v9, v73
	v_mul_f32_e32 v79, v93, v31
	v_fmac_f32_e32 v79, v30, v94
	v_pk_fma_f32 v[30:31], v[74:75], s[14:15], v[40:41] op_sel:[1,0,0] op_sel_hi:[0,0,1]
	v_pk_fma_f32 v[30:31], v[68:69], s[0:1], v[30:31] op_sel:[1,0,0] op_sel_hi:[0,0,1] neg_lo:[1,0,0] neg_hi:[1,0,0]
	v_pk_add_f32 v[16:17], v[42:43], v[34:35] neg_lo:[0,1] neg_hi:[0,1]
	v_mov_b32_e32 v42, v22
	v_fmac_f32_e32 v42, -0.5, v12
	v_fmac_f32_e32 v7, -0.5, v13
	v_add_f32_e32 v22, v28, v11
	v_fmamk_f32 v43, v33, 0xbf737871, v42
	v_fmac_f32_e32 v42, 0x3f737871, v33
	v_mov_b32_e32 v11, v61
	v_pk_mul_f32 v[10:11], v[10:11], s[12:13]
	v_pk_add_f32 v[20:21], v[26:27], v[20:21]
	s_waitcnt vmcnt(0)
	v_mul_f32_e32 v4, v50, v66
	v_fma_f32 v6, -v51, v67, v4
	v_pk_mul_f32 v[8:9], v[50:51], v[66:67] op_sel:[1,0] op_sel_hi:[0,1]
	v_add_f32_e32 v8, v8, v9
	v_mul_f32_e32 v4, v6, v53
	v_fmac_f32_e32 v4, v52, v8
	v_mul_f32_e32 v8, v8, v53
	v_fma_f32 v6, v52, v6, -v8
	v_pk_add_f32 v[8:9], v[70:71], v[24:25] neg_lo:[0,1] neg_hi:[0,1]
	v_pk_add_f32 v[24:25], v[44:45], v[38:39] neg_lo:[0,1] neg_hi:[0,1]
	v_fmamk_f32 v50, v32, 0x3f737871, v7
	v_pk_add_f32 v[8:9], v[8:9], v[24:25]
	v_pk_fma_f32 v[24:25], v[74:75], s[14:15], v[40:41] op_sel:[1,0,0] op_sel_hi:[0,0,1] neg_lo:[1,0,0] neg_hi:[1,0,0]
	v_pk_fma_f32 v[38:39], v[68:69], s[0:1], v[24:25] op_sel:[1,0,0] op_sel_hi:[0,0,1]
	s_movk_i32 s0, 0x107
	v_mul_u32_u24_sdwa v0, v0, s0 dst_sel:DWORD dst_unused:UNUSED_PAD src0_sel:WORD_0 src1_sel:DWORD
	s_movk_i32 s0, 0x64
	v_mul_lo_u16_sdwa v0, v0, s0 dst_sel:DWORD dst_unused:UNUSED_PAD src0_sel:WORD_1 src1_sel:DWORD
	v_add_u32_e32 v1, v1, v0
	v_add_u32_e32 v0, s5, v18
	v_mad_u64_u32 v[12:13], s[0:1], s4, v1, v[0:1]
	v_add_u32_e32 v13, 10, v1
	v_mad_u64_u32 v[18:19], s[0:1], s4, v13, v[0:1]
	v_add_f32_e32 v13, v15, v98
	v_add_f32_e32 v13, v14, v13
	v_add_u32_e32 v14, 20, v1
	v_mul_f32_e32 v19, 0x3f4f1bbd, v13
	v_mul_f32_e32 v13, 0xbf167918, v13
	v_fmac_f32_e32 v25, 0x3f167918, v68
	v_pk_mul_f32 v[40:41], v[8:9], s[12:13] op_sel_hi:[1,0]
	v_mov_b32_e32 v24, v17
	v_fmac_f32_e32 v19, 0x3f167918, v22
	v_fmac_f32_e32 v13, 0x3f4f1bbd, v22
	v_mad_u64_u32 v[14:15], s[0:1], s4, v14, v[0:1]
	v_pk_add_f32 v[22:23], v[76:77], v[62:63]
	v_add_f32_e32 v45, v40, v30
	v_pk_add_f32 v[16:17], v[16:17], v[24:25]
	v_mul_f32_e32 v15, v22, v72
	v_mul_f32_e32 v24, v23, v72
	v_sub_f32_e32 v30, v64, v13
	v_add_f32_e32 v44, v41, v25
	v_fma_f32 v25, v23, v58, -v15
	v_sub_f32_e32 v15, v48, v19
	v_fmac_f32_e32 v24, v22, v58
	v_mul_f32_e32 v22, v30, v59
	v_fma_f32 v23, v15, v65, -v22
	v_mul_f32_e32 v22, v15, v59
	v_add_u32_e32 v15, 30, v1
	v_mad_u64_u32 v[28:29], s[0:1], s4, v15, v[0:1]
	v_add_u32_e32 v15, 40, v1
	v_mov_b32_e32 v39, v31
	v_fmac_f32_e32 v22, v30, v65
	v_mad_u64_u32 v[30:31], s[0:1], s4, v15, v[0:1]
	v_add_f32_e32 v15, v48, v19
	v_add_f32_e32 v13, v64, v13
	v_fmac_f32_e32 v7, 0xbf737871, v32
	v_mul_f32_e32 v19, v79, v13
	v_mul_f32_e32 v32, v79, v15
	v_fma_f32 v33, v54, v15, -v19
	v_add_u32_e32 v15, 50, v1
	v_add_u32_e32 v19, 60, v1
	v_fmac_f32_e32 v32, v54, v13
	v_add_u32_e32 v13, 0x46, v1
	v_add_u32_e32 v29, 0x50, v1
	v_add_u32_e32 v1, 0x5a, v1
	v_pk_fma_f32 v[8:9], v[8:9], s[12:13], v[38:39] op_sel_hi:[1,0,1]
	v_mov_b32_e32 v17, v60
	v_mad_u64_u32 v[34:35], s[0:1], s4, v15, v[0:1]
	v_mad_u64_u32 v[36:37], s[0:1], s4, v19, v[0:1]
	;; [unrolled: 1-line block ×5, first 2 shown]
	v_add_f32_e32 v1, v11, v43
	v_sub_f32_e32 v11, v42, v11
	v_pk_mul_f32 v[16:17], v[16:17], s[12:13]
	v_add_f32_e32 v11, v10, v11
	v_add_f32_e32 v10, v10, v1
	;; [unrolled: 1-line block ×3, first 2 shown]
	v_sub_f32_e32 v7, v50, v17
	v_add_f32_e32 v1, v16, v1
	v_add_f32_e32 v16, v16, v7
	v_mov_b32_e32 v13, 0
	v_mul_f32_e32 v7, v20, v49
	v_mul_f32_e32 v26, v21, v49
	;; [unrolled: 1-line block ×4, first 2 shown]
	v_mov_b32_e32 v19, v13
	v_mov_b32_e32 v15, v13
	;; [unrolled: 1-line block ×9, first 2 shown]
	v_lshl_add_u64 v[12:13], v[12:13], 3, s[8:9]
	v_fma_f32 v27, v21, v81, -v7
	v_fmac_f32_e32 v26, v20, v81
	v_lshl_add_u64 v[18:19], v[18:19], 3, s[8:9]
	global_store_dwordx2 v[12:13], v[26:27], off
	global_store_dwordx2 v[18:19], v[32:33], off
	v_pk_mul_f32 v[12:13], v[16:17], s[10:11] op_sel_hi:[0,1]
	v_fmac_f32_e32 v42, 0x3f737871, v11
	v_fmac_f32_e32 v43, 0x3e9e377a, v11
	v_pk_fma_f32 v[10:11], v[10:11], s[6:7], v[12:13] op_sel_hi:[0,1,1]
	v_pk_add_f32 v[12:13], v[8:9], v[10:11] neg_lo:[0,1] neg_hi:[0,1]
	v_pk_add_f32 v[8:9], v[8:9], v[10:11]
	v_pk_mul_f32 v[16:17], v[12:13], v[4:5] op_sel_hi:[1,0]
	v_sub_f32_e32 v4, v44, v42
	v_pk_fma_f32 v[18:19], v[12:13], v[6:7], v[16:17] op_sel:[0,0,1] op_sel_hi:[1,1,0]
	v_pk_fma_f32 v[6:7], v[12:13], v[6:7], v[16:17] op_sel:[0,0,1] op_sel_hi:[1,0,0] neg_lo:[0,0,1] neg_hi:[0,0,1]
	v_mul_f32_e32 v10, v9, v57
	v_sub_f32_e32 v6, v45, v43
	v_mul_f32_e32 v12, v6, v46
	v_fma_f32 v13, v4, v3, -v12
	v_mul_f32_e32 v12, v4, v46
	v_fmac_f32_e32 v12, v6, v3
	v_mul_f32_e32 v3, v8, v57
	v_fma_f32 v11, v9, v78, -v3
	v_add_f32_e32 v3, v44, v42
	v_add_f32_e32 v4, v45, v43
	v_fmac_f32_e32 v10, v8, v78
	v_mul_f32_e32 v6, v4, v55
	v_mul_f32_e32 v8, v3, v55
	v_lshl_add_u64 v[14:15], v[14:15], 3, s[8:9]
	v_lshl_add_u64 v[34:35], v[34:35], 3, s[8:9]
	;; [unrolled: 1-line block ×4, first 2 shown]
	v_fma_f32 v9, v3, v56, -v6
	v_fmac_f32_e32 v8, v4, v56
	v_mov_b32_e32 v81, v47
	v_mov_b32_e32 v19, v7
	;; [unrolled: 1-line block ×3, first 2 shown]
	v_lshl_add_u64 v[28:29], v[28:29], 3, s[8:9]
	v_lshl_add_u64 v[30:31], v[30:31], 3, s[8:9]
	;; [unrolled: 1-line block ×4, first 2 shown]
	global_store_dwordx2 v[14:15], v[8:9], off
	global_store_dwordx2 v[28:29], v[10:11], off
	;; [unrolled: 1-line block ×8, first 2 shown]
.LBB0_24:
	s_endpgm
	.section	.rodata,"a",@progbits
	.p2align	6, 0x0
	.amdhsa_kernel fft_rtc_back_len100_factors_10_10_wgs_250_tpt_10_dim2_sp_ip_CI_sbcc_twdbase8_3step_dirReg_intrinsicReadWrite
		.amdhsa_group_segment_fixed_size 0
		.amdhsa_private_segment_fixed_size 0
		.amdhsa_kernarg_size 88
		.amdhsa_user_sgpr_count 2
		.amdhsa_user_sgpr_dispatch_ptr 0
		.amdhsa_user_sgpr_queue_ptr 0
		.amdhsa_user_sgpr_kernarg_segment_ptr 1
		.amdhsa_user_sgpr_dispatch_id 0
		.amdhsa_user_sgpr_kernarg_preload_length 0
		.amdhsa_user_sgpr_kernarg_preload_offset 0
		.amdhsa_user_sgpr_private_segment_size 0
		.amdhsa_uses_dynamic_stack 0
		.amdhsa_enable_private_segment 0
		.amdhsa_system_sgpr_workgroup_id_x 1
		.amdhsa_system_sgpr_workgroup_id_y 0
		.amdhsa_system_sgpr_workgroup_id_z 0
		.amdhsa_system_sgpr_workgroup_info 0
		.amdhsa_system_vgpr_workitem_id 0
		.amdhsa_next_free_vgpr 99
		.amdhsa_next_free_sgpr 21
		.amdhsa_accum_offset 100
		.amdhsa_reserve_vcc 1
		.amdhsa_float_round_mode_32 0
		.amdhsa_float_round_mode_16_64 0
		.amdhsa_float_denorm_mode_32 3
		.amdhsa_float_denorm_mode_16_64 3
		.amdhsa_dx10_clamp 1
		.amdhsa_ieee_mode 1
		.amdhsa_fp16_overflow 0
		.amdhsa_tg_split 0
		.amdhsa_exception_fp_ieee_invalid_op 0
		.amdhsa_exception_fp_denorm_src 0
		.amdhsa_exception_fp_ieee_div_zero 0
		.amdhsa_exception_fp_ieee_overflow 0
		.amdhsa_exception_fp_ieee_underflow 0
		.amdhsa_exception_fp_ieee_inexact 0
		.amdhsa_exception_int_div_zero 0
	.end_amdhsa_kernel
	.text
.Lfunc_end0:
	.size	fft_rtc_back_len100_factors_10_10_wgs_250_tpt_10_dim2_sp_ip_CI_sbcc_twdbase8_3step_dirReg_intrinsicReadWrite, .Lfunc_end0-fft_rtc_back_len100_factors_10_10_wgs_250_tpt_10_dim2_sp_ip_CI_sbcc_twdbase8_3step_dirReg_intrinsicReadWrite
                                        ; -- End function
	.section	.AMDGPU.csdata,"",@progbits
; Kernel info:
; codeLenInByte = 5232
; NumSgprs: 27
; NumVgprs: 99
; NumAgprs: 0
; TotalNumVgprs: 99
; ScratchSize: 0
; MemoryBound: 0
; FloatMode: 240
; IeeeMode: 1
; LDSByteSize: 0 bytes/workgroup (compile time only)
; SGPRBlocks: 3
; VGPRBlocks: 12
; NumSGPRsForWavesPerEU: 27
; NumVGPRsForWavesPerEU: 99
; AccumOffset: 100
; Occupancy: 4
; WaveLimiterHint : 1
; COMPUTE_PGM_RSRC2:SCRATCH_EN: 0
; COMPUTE_PGM_RSRC2:USER_SGPR: 2
; COMPUTE_PGM_RSRC2:TRAP_HANDLER: 0
; COMPUTE_PGM_RSRC2:TGID_X_EN: 1
; COMPUTE_PGM_RSRC2:TGID_Y_EN: 0
; COMPUTE_PGM_RSRC2:TGID_Z_EN: 0
; COMPUTE_PGM_RSRC2:TIDIG_COMP_CNT: 0
; COMPUTE_PGM_RSRC3_GFX90A:ACCUM_OFFSET: 24
; COMPUTE_PGM_RSRC3_GFX90A:TG_SPLIT: 0
	.text
	.p2alignl 6, 3212836864
	.fill 256, 4, 3212836864
	.type	__hip_cuid_a1e4adc359ab83ef,@object ; @__hip_cuid_a1e4adc359ab83ef
	.section	.bss,"aw",@nobits
	.globl	__hip_cuid_a1e4adc359ab83ef
__hip_cuid_a1e4adc359ab83ef:
	.byte	0                               ; 0x0
	.size	__hip_cuid_a1e4adc359ab83ef, 1

	.ident	"AMD clang version 19.0.0git (https://github.com/RadeonOpenCompute/llvm-project roc-6.4.0 25133 c7fe45cf4b819c5991fe208aaa96edf142730f1d)"
	.section	".note.GNU-stack","",@progbits
	.addrsig
	.addrsig_sym __hip_cuid_a1e4adc359ab83ef
	.amdgpu_metadata
---
amdhsa.kernels:
  - .agpr_count:     0
    .args:
      - .actual_access:  read_only
        .address_space:  global
        .offset:         0
        .size:           8
        .value_kind:     global_buffer
      - .address_space:  global
        .offset:         8
        .size:           8
        .value_kind:     global_buffer
      - .actual_access:  read_only
        .address_space:  global
        .offset:         16
        .size:           8
        .value_kind:     global_buffer
      - .actual_access:  read_only
        .address_space:  global
        .offset:         24
        .size:           8
        .value_kind:     global_buffer
      - .offset:         32
        .size:           8
        .value_kind:     by_value
      - .actual_access:  read_only
        .address_space:  global
        .offset:         40
        .size:           8
        .value_kind:     global_buffer
      - .actual_access:  read_only
        .address_space:  global
        .offset:         48
        .size:           8
        .value_kind:     global_buffer
      - .offset:         56
        .size:           4
        .value_kind:     by_value
      - .actual_access:  read_only
        .address_space:  global
        .offset:         64
        .size:           8
        .value_kind:     global_buffer
      - .actual_access:  read_only
        .address_space:  global
        .offset:         72
        .size:           8
        .value_kind:     global_buffer
      - .address_space:  global
        .offset:         80
        .size:           8
        .value_kind:     global_buffer
    .group_segment_fixed_size: 0
    .kernarg_segment_align: 8
    .kernarg_segment_size: 88
    .language:       OpenCL C
    .language_version:
      - 2
      - 0
    .max_flat_workgroup_size: 250
    .name:           fft_rtc_back_len100_factors_10_10_wgs_250_tpt_10_dim2_sp_ip_CI_sbcc_twdbase8_3step_dirReg_intrinsicReadWrite
    .private_segment_fixed_size: 0
    .sgpr_count:     27
    .sgpr_spill_count: 0
    .symbol:         fft_rtc_back_len100_factors_10_10_wgs_250_tpt_10_dim2_sp_ip_CI_sbcc_twdbase8_3step_dirReg_intrinsicReadWrite.kd
    .uniform_work_group_size: 1
    .uses_dynamic_stack: false
    .vgpr_count:     99
    .vgpr_spill_count: 0
    .wavefront_size: 64
amdhsa.target:   amdgcn-amd-amdhsa--gfx950
amdhsa.version:
  - 1
  - 2
...

	.end_amdgpu_metadata
